;; amdgpu-corpus repo=ROCm/rocFFT kind=compiled arch=gfx906 opt=O3
	.text
	.amdgcn_target "amdgcn-amd-amdhsa--gfx906"
	.amdhsa_code_object_version 6
	.protected	bluestein_single_fwd_len140_dim1_sp_op_CI_CI ; -- Begin function bluestein_single_fwd_len140_dim1_sp_op_CI_CI
	.globl	bluestein_single_fwd_len140_dim1_sp_op_CI_CI
	.p2align	8
	.type	bluestein_single_fwd_len140_dim1_sp_op_CI_CI,@function
bluestein_single_fwd_len140_dim1_sp_op_CI_CI: ; @bluestein_single_fwd_len140_dim1_sp_op_CI_CI
; %bb.0:
	s_load_dwordx4 s[0:3], s[4:5], 0x28
	v_mul_u32_u24_e32 v1, 0x925, v0
	v_lshrrev_b32_e32 v1, 16, v1
	v_lshl_add_u32 v32, s6, 1, v1
	v_mov_b32_e32 v33, 0
	s_waitcnt lgkmcnt(0)
	v_cmp_gt_u64_e32 vcc, s[0:1], v[32:33]
	s_and_saveexec_b64 s[0:1], vcc
	s_cbranch_execz .LBB0_23
; %bb.1:
	s_load_dwordx2 s[10:11], s[4:5], 0x0
	s_load_dwordx2 s[8:9], s[4:5], 0x38
	v_mul_lo_u16_e32 v2, 28, v1
	v_sub_u16_e32 v37, v0, v2
	v_and_b32_e32 v0, 1, v1
	v_mov_b32_e32 v1, 0x8c
	v_cmp_eq_u32_e32 vcc, 1, v0
	v_cndmask_b32_e32 v14, 0, v1, vcc
	v_cmp_gt_u16_e32 vcc, 20, v37
	v_lshlrev_b32_e32 v38, 3, v37
	v_lshlrev_b32_e32 v39, 3, v14
	s_and_saveexec_b64 s[6:7], vcc
	s_cbranch_execz .LBB0_3
; %bb.2:
	s_load_dwordx2 s[0:1], s[4:5], 0x18
	v_lshl_add_u32 v31, v37, 3, v39
	v_add_u32_e32 v33, v39, v38
	s_waitcnt lgkmcnt(0)
	s_load_dwordx4 s[12:15], s[0:1], 0x0
	s_waitcnt lgkmcnt(0)
	v_mad_u64_u32 v[0:1], s[0:1], s14, v32, 0
	v_mad_u64_u32 v[2:3], s[0:1], s12, v37, 0
	;; [unrolled: 1-line block ×4, first 2 shown]
	v_mov_b32_e32 v1, v4
	v_lshlrev_b64 v[0:1], 3, v[0:1]
	v_mov_b32_e32 v3, v5
	v_mov_b32_e32 v6, s3
	v_lshlrev_b64 v[2:3], 3, v[2:3]
	v_add_co_u32_e64 v0, s[0:1], s2, v0
	v_addc_co_u32_e64 v1, s[0:1], v6, v1, s[0:1]
	v_add_co_u32_e64 v0, s[0:1], v0, v2
	v_addc_co_u32_e64 v1, s[0:1], v1, v3, s[0:1]
	s_mul_i32 s0, s13, 0xa0
	s_mul_hi_u32 s1, s12, 0xa0
	s_add_i32 s2, s1, s0
	s_mul_i32 s3, s12, 0xa0
	global_load_dwordx2 v[2:3], v[0:1], off
	v_mov_b32_e32 v4, s2
	v_add_co_u32_e64 v0, s[0:1], s3, v0
	v_addc_co_u32_e64 v1, s[0:1], v1, v4, s[0:1]
	v_mov_b32_e32 v5, s2
	v_add_co_u32_e64 v4, s[0:1], s3, v0
	v_addc_co_u32_e64 v5, s[0:1], v1, v5, s[0:1]
	;; [unrolled: 3-line block ×3, first 2 shown]
	global_load_dwordx2 v[6:7], v38, s[10:11]
	global_load_dwordx2 v[8:9], v38, s[10:11] offset:160
	global_load_dwordx2 v[10:11], v38, s[10:11] offset:320
	;; [unrolled: 1-line block ×3, first 2 shown]
	global_load_dwordx2 v[17:18], v[0:1], off
	global_load_dwordx2 v[19:20], v[4:5], off
	;; [unrolled: 1-line block ×3, first 2 shown]
	global_load_dwordx2 v[23:24], v38, s[10:11] offset:640
	global_load_dwordx2 v[25:26], v38, s[10:11] offset:800
	v_mov_b32_e32 v1, s2
	v_add_co_u32_e64 v0, s[0:1], s3, v15
	v_addc_co_u32_e64 v1, s[0:1], v16, v1, s[0:1]
	v_mov_b32_e32 v27, s2
	global_load_dwordx2 v[4:5], v[0:1], off
	v_add_co_u32_e64 v0, s[0:1], s3, v0
	v_addc_co_u32_e64 v1, s[0:1], v1, v27, s[0:1]
	v_mov_b32_e32 v28, s2
	global_load_dwordx2 v[15:16], v[0:1], off
	v_add_co_u32_e64 v0, s[0:1], s3, v0
	v_addc_co_u32_e64 v1, s[0:1], v1, v28, s[0:1]
	global_load_dwordx2 v[27:28], v38, s[10:11] offset:960
	global_load_dwordx2 v[29:30], v[0:1], off
	s_waitcnt vmcnt(12)
	v_mul_f32_e32 v0, v3, v7
	v_mul_f32_e32 v1, v2, v7
	v_fmac_f32_e32 v0, v2, v6
	v_fma_f32 v1, v3, v6, -v1
	s_waitcnt vmcnt(8)
	v_mul_f32_e32 v3, v17, v9
	v_mul_f32_e32 v2, v18, v9
	s_waitcnt vmcnt(7)
	v_mul_f32_e32 v7, v19, v11
	v_mul_f32_e32 v6, v20, v11
	v_fma_f32 v3, v18, v8, -v3
	v_fmac_f32_e32 v2, v17, v8
	v_fma_f32 v7, v20, v10, -v7
	v_fmac_f32_e32 v6, v19, v10
	ds_write_b64 v31, v[0:1]
	s_waitcnt vmcnt(6)
	v_mul_f32_e32 v0, v22, v13
	v_mul_f32_e32 v1, v21, v13
	ds_write2_b64 v33, v[2:3], v[6:7] offset0:20 offset1:40
	s_waitcnt vmcnt(3)
	v_mul_f32_e32 v2, v5, v24
	v_mul_f32_e32 v3, v4, v24
	v_fmac_f32_e32 v0, v21, v12
	v_fma_f32 v1, v22, v12, -v1
	v_fmac_f32_e32 v2, v4, v23
	v_fma_f32 v3, v5, v23, -v3
	s_waitcnt vmcnt(2)
	v_mul_f32_e32 v4, v16, v26
	v_mul_f32_e32 v5, v15, v26
	ds_write2_b64 v33, v[0:1], v[2:3] offset0:60 offset1:80
	s_waitcnt vmcnt(0)
	v_mul_f32_e32 v0, v30, v28
	v_mul_f32_e32 v1, v29, v28
	v_fmac_f32_e32 v4, v15, v25
	v_fma_f32 v5, v16, v25, -v5
	v_fmac_f32_e32 v0, v29, v27
	v_fma_f32 v1, v30, v27, -v1
	ds_write2_b64 v33, v[4:5], v[0:1] offset0:100 offset1:120
.LBB0_3:
	s_or_b64 exec, exec, s[6:7]
	s_load_dwordx2 s[0:1], s[4:5], 0x20
	s_load_dwordx2 s[2:3], s[4:5], 0x8
	v_mov_b32_e32 v2, 0
	v_mov_b32_e32 v3, 0
	;; [unrolled: 1-line block ×8, first 2 shown]
	s_waitcnt lgkmcnt(0)
	; wave barrier
	s_waitcnt lgkmcnt(0)
                                        ; implicit-def: $vgpr12
	s_and_saveexec_b64 s[4:5], vcc
	s_cbranch_execz .LBB0_5
; %bb.4:
	v_lshl_add_u32 v12, v14, 3, v38
	ds_read2_b64 v[0:3], v12 offset1:20
	ds_read2_b64 v[4:7], v12 offset0:40 offset1:60
	ds_read2_b64 v[8:11], v12 offset0:80 offset1:100
	ds_read_b64 v[12:13], v12 offset:960
.LBB0_5:
	s_or_b64 exec, exec, s[4:5]
	s_waitcnt lgkmcnt(0)
	v_add_f32_e32 v15, v12, v2
	v_add_f32_e32 v17, v10, v4
	;; [unrolled: 1-line block ×4, first 2 shown]
	v_sub_f32_e32 v4, v4, v10
	v_add_f32_e32 v10, v6, v8
	v_sub_f32_e32 v6, v8, v6
	v_add_f32_e32 v8, v15, v17
	v_sub_f32_e32 v12, v2, v12
	v_sub_f32_e32 v13, v3, v13
	;; [unrolled: 1-line block ×3, first 2 shown]
	v_add_f32_e32 v11, v7, v9
	v_sub_f32_e32 v7, v9, v7
	v_add_f32_e32 v9, v16, v18
	v_sub_f32_e32 v2, v17, v15
	v_sub_f32_e32 v19, v15, v10
	;; [unrolled: 1-line block ×3, first 2 shown]
	v_add_f32_e32 v10, v8, v10
	v_sub_f32_e32 v3, v18, v16
	v_sub_f32_e32 v16, v16, v11
	;; [unrolled: 1-line block ×3, first 2 shown]
	v_add_f32_e32 v18, v4, v6
	v_add_f32_e32 v20, v5, v7
	v_sub_f32_e32 v21, v6, v4
	v_sub_f32_e32 v22, v7, v5
	;; [unrolled: 1-line block ×4, first 2 shown]
	v_add_f32_e32 v26, v9, v11
	v_add_f32_e32 v0, v10, v0
	v_mul_f32_e32 v4, 0x3d64c772, v15
	v_sub_f32_e32 v24, v12, v6
	v_sub_f32_e32 v23, v5, v13
	v_add_f32_e32 v6, v12, v18
	v_add_f32_e32 v5, v13, v20
	;; [unrolled: 1-line block ×3, first 2 shown]
	v_mul_f32_e32 v12, 0x3f4a47b2, v19
	v_mul_f32_e32 v18, 0x3f4a47b2, v16
	;; [unrolled: 1-line block ×6, first 2 shown]
	v_mov_b32_e32 v7, v0
	v_mov_b32_e32 v20, v4
	s_mov_b32 s4, 0xbf3bfb3b
	v_mul_f32_e32 v9, 0x3f5ff5aa, v23
	v_fmac_f32_e32 v7, 0xbf955555, v10
	v_mov_b32_e32 v23, v1
	v_fmac_f32_e32 v20, 0x3f4a47b2, v19
	v_mov_b32_e32 v19, v13
	v_fma_f32 v21, v2, s4, -v12
	v_fma_f32 v18, v3, s4, -v18
	v_mov_b32_e32 v10, v11
	v_mov_b32_e32 v12, v8
	s_mov_b32 s4, 0xbeae86e6
	v_fmac_f32_e32 v23, 0xbf955555, v26
	v_fmac_f32_e32 v19, 0x3f4a47b2, v16
	;; [unrolled: 1-line block ×4, first 2 shown]
	v_fma_f32 v17, v24, s4, -v15
	v_fma_f32 v22, v25, s4, -v9
	v_add_f32_e32 v16, v20, v7
	v_add_f32_e32 v24, v19, v23
	;; [unrolled: 1-line block ×4, first 2 shown]
	v_fmac_f32_e32 v10, 0x3ee1c552, v6
	v_fmac_f32_e32 v12, 0x3ee1c552, v5
	;; [unrolled: 1-line block ×4, first 2 shown]
	v_sub_f32_e32 v18, v25, v22
	v_add_f32_e32 v19, v17, v26
	v_sub_f32_e32 v20, v16, v12
	v_add_f32_e32 v21, v10, v24
	v_mul_lo_u16_e32 v42, 7, v37
	s_waitcnt lgkmcnt(0)
	; wave barrier
	s_and_saveexec_b64 s[4:5], vcc
	s_cbranch_execz .LBB0_7
; %bb.6:
	v_mul_f32_e32 v3, 0x3f3bfb3b, v3
	v_sub_f32_e32 v3, v3, v13
	v_add_f32_e32 v13, v3, v23
	v_sub_f32_e32 v3, v15, v11
	v_mul_f32_e32 v6, 0x3ee1c552, v6
	v_mul_f32_e32 v2, 0x3f3bfb3b, v2
	v_add_f32_e32 v6, v3, v6
	v_mul_f32_e32 v3, 0x3ee1c552, v5
	v_sub_f32_e32 v5, v9, v8
	v_sub_f32_e32 v2, v2, v4
	v_add_f32_e32 v8, v5, v3
	v_add_f32_e32 v4, v2, v7
	;; [unrolled: 1-line block ×3, first 2 shown]
	v_sub_f32_e32 v4, v4, v8
	v_sub_f32_e32 v9, v24, v10
	v_add_f32_e32 v8, v16, v12
	v_add_lshl_u32 v10, v14, v42, 3
	v_sub_f32_e32 v3, v13, v6
	v_add_f32_e32 v5, v6, v13
	v_sub_f32_e32 v7, v26, v17
	v_add_f32_e32 v6, v25, v22
	ds_write2_b64 v10, v[0:1], v[8:9] offset1:1
	ds_write2_b64 v10, v[6:7], v[4:5] offset0:2 offset1:3
	ds_write2_b64 v10, v[2:3], v[18:19] offset0:4 offset1:5
	ds_write_b64 v10, v[20:21] offset:48
.LBB0_7:
	s_or_b64 exec, exec, s[4:5]
	v_mov_b32_e32 v0, 37
	v_mul_lo_u16_sdwa v0, v37, v0 dst_sel:DWORD dst_unused:UNUSED_PAD src0_sel:BYTE_0 src1_sel:DWORD
	v_sub_u16_sdwa v1, v37, v0 dst_sel:DWORD dst_unused:UNUSED_PAD src0_sel:DWORD src1_sel:BYTE_1
	v_lshrrev_b16_e32 v1, 1, v1
	v_and_b32_e32 v1, 0x7f, v1
	v_add_u16_sdwa v0, v1, v0 dst_sel:DWORD dst_unused:UNUSED_PAD src0_sel:DWORD src1_sel:BYTE_1
	v_lshrrev_b16_e32 v15, 2, v0
	v_mul_lo_u16_e32 v0, 7, v15
	v_sub_u16_e32 v16, v37, v0
	v_lshlrev_b16_e32 v0, 2, v16
	v_and_b32_e32 v0, 0xfc, v0
	v_lshlrev_b32_e32 v8, 3, v0
	s_load_dwordx4 s[4:7], s[0:1], 0x0
	s_waitcnt lgkmcnt(0)
	; wave barrier
	s_waitcnt lgkmcnt(0)
	global_load_dwordx4 v[4:7], v8, s[2:3]
	global_load_dwordx4 v[0:3], v8, s[2:3] offset:16
	v_add_lshl_u32 v40, v14, v37, 3
	ds_read2_b64 v[8:11], v40 offset1:28
	ds_read2_b64 v[22:25], v40 offset0:56 offset1:84
	ds_read_b64 v[12:13], v40 offset:896
	v_mad_legacy_u16 v15, v15, 35, v16
	v_and_b32_e32 v15, 0xff, v15
	s_waitcnt lgkmcnt(0)
	; wave barrier
	s_waitcnt lgkmcnt(0)
	v_cmp_gt_u16_e64 s[0:1], 7, v37
	s_waitcnt vmcnt(1)
	v_mul_f32_e32 v16, v11, v5
	v_mul_f32_e32 v17, v10, v5
	;; [unrolled: 1-line block ×4, first 2 shown]
	s_waitcnt vmcnt(0)
	v_mul_f32_e32 v28, v25, v1
	v_mul_f32_e32 v29, v24, v1
	;; [unrolled: 1-line block ×4, first 2 shown]
	v_fma_f32 v22, v22, v6, -v26
	v_fmac_f32_e32 v27, v23, v6
	v_fma_f32 v23, v24, v0, -v28
	v_fmac_f32_e32 v29, v25, v0
	;; [unrolled: 2-line block ×4, first 2 shown]
	v_add_f32_e32 v11, v8, v10
	v_add_f32_e32 v12, v22, v23
	v_add_f32_e32 v25, v27, v29
	v_add_f32_e32 v30, v9, v17
	v_add_f32_e32 v13, v10, v24
	v_add_f32_e32 v26, v17, v31
	v_sub_f32_e32 v28, v10, v22
	v_sub_f32_e32 v34, v22, v10
	;; [unrolled: 1-line block ×6, first 2 shown]
	v_fma_f32 v16, -0.5, v12, v8
	v_fma_f32 v17, -0.5, v25, v9
	v_add_f32_e32 v10, v30, v27
	v_add_f32_e32 v11, v11, v22
	v_sub_f32_e32 v33, v24, v23
	v_sub_f32_e32 v35, v23, v24
	;; [unrolled: 1-line block ×3, first 2 shown]
	v_fma_f32 v8, -0.5, v13, v8
	v_fma_f32 v9, -0.5, v26, v9
	v_add_f32_e32 v22, v11, v23
	v_add_f32_e32 v23, v10, v29
	v_mov_b32_e32 v10, v16
	v_mov_b32_e32 v11, v17
	v_sub_f32_e32 v41, v31, v29
	v_sub_f32_e32 v46, v27, v29
	v_mov_b32_e32 v12, v8
	v_mov_b32_e32 v13, v9
	v_fmac_f32_e32 v10, 0x3f737871, v45
	v_fmac_f32_e32 v11, 0xbf737871, v47
	v_sub_f32_e32 v44, v29, v31
	v_add_f32_e32 v25, v28, v33
	v_add_f32_e32 v28, v36, v41
	v_fmac_f32_e32 v16, 0xbf737871, v45
	v_fmac_f32_e32 v8, 0x3f737871, v46
	;; [unrolled: 1-line block ×8, first 2 shown]
	v_add_f32_e32 v26, v34, v35
	v_add_f32_e32 v33, v43, v44
	;; [unrolled: 1-line block ×4, first 2 shown]
	v_fmac_f32_e32 v16, 0xbf167918, v46
	v_fmac_f32_e32 v8, 0xbf167918, v45
	;; [unrolled: 1-line block ×8, first 2 shown]
	v_add_lshl_u32 v43, v14, v15, 3
	v_fmac_f32_e32 v16, 0x3e9e377a, v25
	v_fmac_f32_e32 v8, 0x3e9e377a, v26
	;; [unrolled: 1-line block ×6, first 2 shown]
	ds_write2_b64 v43, v[22:23], v[10:11] offset1:7
	ds_write2_b64 v43, v[12:13], v[8:9] offset0:14 offset1:21
	ds_write_b64 v43, v[16:17] offset:224
	s_waitcnt lgkmcnt(0)
	; wave barrier
	s_waitcnt lgkmcnt(0)
	ds_read2_b64 v[24:27], v40 offset1:35
	ds_read2_b64 v[28:31], v40 offset0:70 offset1:105
	s_and_saveexec_b64 s[12:13], s[0:1]
	s_cbranch_execz .LBB0_9
; %bb.8:
	ds_read2_b64 v[16:19], v40 offset0:28 offset1:63
	ds_read2_b64 v[20:23], v40 offset0:98 offset1:133
.LBB0_9:
	s_or_b64 exec, exec, s[12:13]
	v_mad_u64_u32 v[8:9], s[12:13], v37, 24, s[2:3]
	v_add_u32_e32 v10, 28, v37
	v_add_u32_e32 v11, -7, v37
	v_cndmask_b32_e64 v10, v11, v10, s[0:1]
	global_load_dwordx4 v[12:15], v[8:9], off offset:224
	global_load_dwordx2 v[35:36], v[8:9], off offset:240
	v_mul_i32_i24_e32 v8, 24, v10
	v_mov_b32_e32 v33, s3
	v_mul_hi_i32_i24_e32 v11, 24, v10
	v_add_co_u32_e64 v44, s[2:3], s2, v8
	v_addc_co_u32_e64 v45, s[2:3], v33, v11, s[2:3]
	global_load_dwordx4 v[8:11], v[44:45], off offset:224
	global_load_dwordx2 v[33:34], v[44:45], off offset:240
	v_lshl_add_u32 v41, v37, 3, v39
	s_waitcnt vmcnt(3) lgkmcnt(1)
	v_mul_f32_e32 v44, v27, v13
	v_mul_f32_e32 v45, v26, v13
	s_waitcnt lgkmcnt(0)
	v_mul_f32_e32 v46, v29, v15
	v_mul_f32_e32 v47, v28, v15
	s_waitcnt vmcnt(2)
	v_mul_f32_e32 v48, v31, v36
	v_mul_f32_e32 v49, v30, v36
	v_fma_f32 v28, v28, v14, -v46
	v_fmac_f32_e32 v47, v29, v14
	s_waitcnt vmcnt(1)
	v_mul_f32_e32 v50, v21, v11
	v_mul_f32_e32 v51, v20, v11
	s_waitcnt vmcnt(0)
	v_mul_f32_e32 v52, v23, v34
	v_mul_f32_e32 v53, v22, v34
	;; [unrolled: 1-line block ×4, first 2 shown]
	v_fma_f32 v29, v30, v35, -v48
	v_fmac_f32_e32 v49, v31, v35
	v_fma_f32 v20, v20, v10, -v50
	v_fmac_f32_e32 v51, v21, v10
	;; [unrolled: 2-line block ×5, first 2 shown]
	v_sub_f32_e32 v23, v24, v28
	v_sub_f32_e32 v28, v25, v47
	v_sub_f32_e32 v19, v22, v29
	v_sub_f32_e32 v26, v45, v49
	v_sub_f32_e32 v20, v16, v20
	v_sub_f32_e32 v29, v17, v51
	v_sub_f32_e32 v21, v18, v21
	v_sub_f32_e32 v30, v55, v53
	v_fma_f32 v44, v24, 2.0, -v23
	v_fma_f32 v46, v25, 2.0, -v28
	;; [unrolled: 1-line block ×8, first 2 shown]
	v_sub_f32_e32 v26, v23, v26
	v_add_f32_e32 v27, v28, v19
	v_sub_f32_e32 v18, v20, v30
	v_add_f32_e32 v19, v29, v21
	v_sub_f32_e32 v24, v44, v22
	v_sub_f32_e32 v25, v46, v25
	;; [unrolled: 1-line block ×4, first 2 shown]
	v_fma_f32 v22, v23, 2.0, -v26
	v_fma_f32 v23, v28, 2.0, -v27
	;; [unrolled: 1-line block ×8, first 2 shown]
	ds_write2_b64 v41, v[20:21], v[22:23] offset1:35
	ds_write2_b64 v41, v[24:25], v[26:27] offset0:70 offset1:105
	s_and_saveexec_b64 s[2:3], s[0:1]
	s_cbranch_execz .LBB0_11
; %bb.10:
	ds_write2_b64 v41, v[28:29], v[30:31] offset0:28 offset1:63
	ds_write2_b64 v41, v[16:17], v[18:19] offset0:98 offset1:133
.LBB0_11:
	s_or_b64 exec, exec, s[2:3]
	s_waitcnt lgkmcnt(0)
	; wave barrier
	s_waitcnt lgkmcnt(0)
	s_and_saveexec_b64 s[2:3], vcc
	s_cbranch_execz .LBB0_13
; %bb.12:
	global_load_dwordx2 v[48:49], v38, s[10:11] offset:1120
	ds_read2_b64 v[44:47], v41 offset1:20
	s_add_u32 s12, s10, 0x460
	s_addc_u32 s13, s11, 0
	s_waitcnt vmcnt(0) lgkmcnt(0)
	v_mul_f32_e32 v50, v45, v49
	v_mul_f32_e32 v51, v44, v49
	v_fma_f32 v50, v44, v48, -v50
	v_fmac_f32_e32 v51, v45, v48
	global_load_dwordx2 v[44:45], v38, s[12:13] offset:160
	s_waitcnt vmcnt(0)
	v_mul_f32_e32 v48, v47, v45
	v_mul_f32_e32 v49, v46, v45
	v_fma_f32 v48, v46, v44, -v48
	v_fmac_f32_e32 v49, v47, v44
	ds_write2_b64 v41, v[50:51], v[48:49] offset1:20
	global_load_dwordx2 v[48:49], v38, s[12:13] offset:320
	ds_read2_b64 v[44:47], v41 offset0:40 offset1:60
	s_waitcnt vmcnt(0) lgkmcnt(0)
	v_mul_f32_e32 v50, v45, v49
	v_mul_f32_e32 v51, v44, v49
	v_fma_f32 v50, v44, v48, -v50
	v_fmac_f32_e32 v51, v45, v48
	global_load_dwordx2 v[44:45], v38, s[12:13] offset:480
	s_waitcnt vmcnt(0)
	v_mul_f32_e32 v48, v47, v45
	v_mul_f32_e32 v49, v46, v45
	v_fma_f32 v48, v46, v44, -v48
	v_fmac_f32_e32 v49, v47, v44
	ds_write2_b64 v41, v[50:51], v[48:49] offset0:40 offset1:60
	global_load_dwordx2 v[48:49], v38, s[12:13] offset:640
	ds_read2_b64 v[44:47], v41 offset0:80 offset1:100
	s_waitcnt vmcnt(0) lgkmcnt(0)
	v_mul_f32_e32 v50, v45, v49
	v_mul_f32_e32 v51, v44, v49
	v_fma_f32 v50, v44, v48, -v50
	v_fmac_f32_e32 v51, v45, v48
	global_load_dwordx2 v[44:45], v38, s[12:13] offset:800
	s_waitcnt vmcnt(0)
	v_mul_f32_e32 v48, v47, v45
	v_mul_f32_e32 v49, v46, v45
	v_fma_f32 v48, v46, v44, -v48
	v_fmac_f32_e32 v49, v47, v44
	global_load_dwordx2 v[46:47], v38, s[12:13] offset:960
	ds_read_b64 v[44:45], v41 offset:960
	ds_write2_b64 v41, v[50:51], v[48:49] offset0:80 offset1:100
	s_waitcnt vmcnt(0) lgkmcnt(1)
	v_mul_f32_e32 v48, v45, v47
	v_mul_f32_e32 v49, v44, v47
	v_fma_f32 v48, v44, v46, -v48
	v_fmac_f32_e32 v49, v45, v46
	ds_write_b64 v41, v[48:49] offset:960
.LBB0_13:
	s_or_b64 exec, exec, s[2:3]
	s_waitcnt lgkmcnt(0)
	; wave barrier
	s_waitcnt lgkmcnt(0)
	s_and_saveexec_b64 s[2:3], vcc
	s_cbranch_execz .LBB0_15
; %bb.14:
	ds_read2_b64 v[20:23], v41 offset1:20
	ds_read2_b64 v[24:27], v41 offset0:40 offset1:60
	ds_read2_b64 v[28:31], v41 offset0:80 offset1:100
	ds_read_b64 v[16:17], v41 offset:960
.LBB0_15:
	s_or_b64 exec, exec, s[2:3]
	s_waitcnt lgkmcnt(0)
	v_add_f32_e32 v44, v16, v22
	v_add_f32_e32 v45, v17, v23
	v_sub_f32_e32 v16, v22, v16
	v_sub_f32_e32 v17, v23, v17
	v_add_f32_e32 v22, v30, v24
	v_add_f32_e32 v23, v31, v25
	;; [unrolled: 1-line block ×6, first 2 shown]
	v_sub_f32_e32 v30, v24, v30
	v_sub_f32_e32 v31, v25, v31
	;; [unrolled: 1-line block ×7, first 2 shown]
	v_add_f32_e32 v48, v46, v48
	v_add_f32_e32 v47, v47, v49
	v_sub_f32_e32 v24, v22, v44
	v_sub_f32_e32 v44, v44, v46
	;; [unrolled: 1-line block ×3, first 2 shown]
	v_add_f32_e32 v22, v28, v30
	v_add_f32_e32 v23, v29, v31
	v_sub_f32_e32 v50, v28, v30
	v_sub_f32_e32 v51, v29, v31
	;; [unrolled: 1-line block ×4, first 2 shown]
	v_add_f32_e32 v20, v20, v48
	v_add_f32_e32 v21, v21, v47
	v_sub_f32_e32 v52, v16, v28
	v_sub_f32_e32 v54, v31, v17
	v_add_f32_e32 v30, v22, v16
	v_add_f32_e32 v31, v23, v17
	v_mul_f32_e32 v16, 0x3f4a47b2, v44
	v_mul_f32_e32 v17, 0x3f4a47b2, v45
	;; [unrolled: 1-line block ×5, first 2 shown]
	v_mov_b32_e32 v29, v20
	v_mov_b32_e32 v49, v21
	s_mov_b32 s2, 0xbf3bfb3b
	v_mul_f32_e32 v45, 0xbf5ff5aa, v54
	v_fmac_f32_e32 v29, 0xbf955555, v48
	v_fmac_f32_e32 v49, 0xbf955555, v47
	v_fma_f32 v22, v24, s2, -v16
	v_fma_f32 v23, v25, s2, -v17
	v_mov_b32_e32 v47, v44
	v_mov_b32_e32 v48, v28
	s_mov_b32 s2, 0x3eae86e6
	v_fmac_f32_e32 v16, 0x3d64c772, v26
	v_fmac_f32_e32 v17, 0x3d64c772, v27
	;; [unrolled: 1-line block ×4, first 2 shown]
	v_fma_f32 v51, v52, s2, -v46
	v_fma_f32 v52, v53, s2, -v45
	v_add_f32_e32 v50, v16, v29
	v_add_f32_e32 v53, v17, v49
	;; [unrolled: 1-line block ×4, first 2 shown]
	v_fmac_f32_e32 v47, 0xbee1c552, v30
	v_fmac_f32_e32 v48, 0xbee1c552, v31
	;; [unrolled: 1-line block ×4, first 2 shown]
	v_sub_f32_e32 v22, v54, v52
	v_add_f32_e32 v23, v51, v55
	v_sub_f32_e32 v16, v50, v48
	v_add_f32_e32 v17, v47, v53
	s_waitcnt lgkmcnt(0)
	; wave barrier
	s_and_saveexec_b64 s[2:3], vcc
	s_cbranch_execz .LBB0_17
; %bb.16:
	v_mul_f32_e32 v27, 0x3d64c772, v27
	v_mul_f32_e32 v25, 0x3f3bfb3b, v25
	v_sub_f32_e32 v25, v25, v27
	v_mul_f32_e32 v26, 0x3d64c772, v26
	v_mul_f32_e32 v24, 0x3f3bfb3b, v24
	;; [unrolled: 1-line block ×3, first 2 shown]
	v_add_f32_e32 v27, v25, v49
	v_sub_f32_e32 v25, v46, v44
	v_mul_f32_e32 v31, 0xbee1c552, v31
	v_add_f32_e32 v30, v30, v25
	v_sub_f32_e32 v28, v45, v28
	v_sub_f32_e32 v24, v24, v26
	;; [unrolled: 1-line block ×3, first 2 shown]
	v_add_f32_e32 v28, v31, v28
	v_add_f32_e32 v26, v24, v29
	;; [unrolled: 1-line block ×3, first 2 shown]
	v_sub_f32_e32 v31, v53, v47
	v_add_f32_e32 v30, v50, v48
	v_lshl_add_u32 v39, v42, 3, v39
	v_add_f32_e32 v24, v28, v26
	v_sub_f32_e32 v26, v26, v28
	v_sub_f32_e32 v29, v55, v51
	v_add_f32_e32 v28, v52, v54
	ds_write2_b64 v39, v[20:21], v[30:31] offset1:1
	ds_write2_b64 v39, v[28:29], v[26:27] offset0:2 offset1:3
	ds_write2_b64 v39, v[24:25], v[22:23] offset0:4 offset1:5
	ds_write_b64 v39, v[16:17] offset:48
.LBB0_17:
	s_or_b64 exec, exec, s[2:3]
	s_waitcnt lgkmcnt(0)
	; wave barrier
	s_waitcnt lgkmcnt(0)
	ds_read2_b64 v[24:27], v40 offset1:28
	ds_read2_b64 v[28:31], v40 offset0:56 offset1:84
	ds_read_b64 v[20:21], v40 offset:896
	s_waitcnt lgkmcnt(0)
	; wave barrier
	s_waitcnt lgkmcnt(0)
	v_mul_f32_e32 v39, v5, v27
	v_mul_f32_e32 v5, v5, v26
	v_fmac_f32_e32 v39, v4, v26
	v_fma_f32 v26, v4, v27, -v5
	v_mul_f32_e32 v5, v7, v29
	v_mul_f32_e32 v4, v7, v28
	;; [unrolled: 1-line block ×3, first 2 shown]
	v_fmac_f32_e32 v5, v6, v28
	v_fmac_f32_e32 v7, v0, v30
	v_mul_f32_e32 v1, v1, v30
	v_fma_f32 v27, v6, v29, -v4
	v_fma_f32 v28, v0, v31, -v1
	v_mul_f32_e32 v29, v3, v21
	v_mul_f32_e32 v0, v3, v20
	v_add_f32_e32 v1, v5, v7
	v_fmac_f32_e32 v29, v2, v20
	v_fma_f32 v30, v2, v21, -v0
	v_fma_f32 v20, -0.5, v1, v24
	v_sub_f32_e32 v1, v26, v30
	v_mov_b32_e32 v2, v20
	v_fmac_f32_e32 v2, 0xbf737871, v1
	v_sub_f32_e32 v3, v27, v28
	v_sub_f32_e32 v4, v39, v5
	;; [unrolled: 1-line block ×3, first 2 shown]
	v_fmac_f32_e32 v20, 0x3f737871, v1
	v_fmac_f32_e32 v2, 0xbf167918, v3
	v_add_f32_e32 v4, v4, v6
	v_fmac_f32_e32 v20, 0x3f167918, v3
	v_fmac_f32_e32 v2, 0x3e9e377a, v4
	;; [unrolled: 1-line block ×3, first 2 shown]
	v_add_f32_e32 v4, v39, v29
	v_fma_f32 v4, -0.5, v4, v24
	v_mov_b32_e32 v6, v4
	v_add_f32_e32 v0, v24, v39
	v_fmac_f32_e32 v6, 0x3f737871, v3
	v_sub_f32_e32 v21, v5, v39
	v_sub_f32_e32 v24, v7, v29
	v_fmac_f32_e32 v4, 0xbf737871, v3
	v_fmac_f32_e32 v6, 0xbf167918, v1
	v_add_f32_e32 v21, v21, v24
	v_fmac_f32_e32 v4, 0x3f167918, v1
	v_add_f32_e32 v3, v27, v28
	v_add_f32_e32 v0, v0, v5
	v_fmac_f32_e32 v6, 0x3e9e377a, v21
	v_fmac_f32_e32 v4, 0x3e9e377a, v21
	v_fma_f32 v21, -0.5, v3, v25
	v_add_f32_e32 v0, v0, v7
	v_sub_f32_e32 v24, v39, v29
	v_mov_b32_e32 v3, v21
	v_add_f32_e32 v0, v0, v29
	v_fmac_f32_e32 v3, 0x3f737871, v24
	v_sub_f32_e32 v29, v5, v7
	v_sub_f32_e32 v5, v26, v27
	;; [unrolled: 1-line block ×3, first 2 shown]
	v_fmac_f32_e32 v21, 0xbf737871, v24
	v_fmac_f32_e32 v3, 0x3f167918, v29
	v_add_f32_e32 v5, v5, v7
	v_fmac_f32_e32 v21, 0xbf167918, v29
	v_fmac_f32_e32 v3, 0x3e9e377a, v5
	;; [unrolled: 1-line block ×3, first 2 shown]
	v_add_f32_e32 v5, v26, v30
	v_fma_f32 v5, -0.5, v5, v25
	v_add_f32_e32 v1, v25, v26
	v_mov_b32_e32 v7, v5
	v_add_f32_e32 v1, v1, v27
	v_fmac_f32_e32 v7, 0xbf737871, v29
	v_sub_f32_e32 v25, v27, v26
	v_sub_f32_e32 v26, v28, v30
	v_fmac_f32_e32 v5, 0x3f737871, v29
	v_add_f32_e32 v1, v1, v28
	v_fmac_f32_e32 v7, 0x3f167918, v24
	v_add_f32_e32 v25, v25, v26
	;; [unrolled: 2-line block ×3, first 2 shown]
	v_fmac_f32_e32 v7, 0x3e9e377a, v25
	v_fmac_f32_e32 v5, 0x3e9e377a, v25
	ds_write2_b64 v43, v[0:1], v[2:3] offset1:7
	ds_write2_b64 v43, v[6:7], v[4:5] offset0:14 offset1:21
	ds_write_b64 v43, v[20:21] offset:224
	s_waitcnt lgkmcnt(0)
	; wave barrier
	s_waitcnt lgkmcnt(0)
	ds_read2_b64 v[0:3], v40 offset1:35
	ds_read2_b64 v[4:7], v40 offset0:70 offset1:105
	s_and_saveexec_b64 s[2:3], s[0:1]
	s_cbranch_execz .LBB0_19
; %bb.18:
	ds_read2_b64 v[20:23], v40 offset0:28 offset1:63
	ds_read2_b64 v[16:19], v40 offset0:98 offset1:133
.LBB0_19:
	s_or_b64 exec, exec, s[2:3]
	s_waitcnt lgkmcnt(1)
	v_mul_f32_e32 v24, v13, v3
	v_fmac_f32_e32 v24, v12, v2
	v_mul_f32_e32 v2, v13, v2
	v_fma_f32 v2, v12, v3, -v2
	s_waitcnt lgkmcnt(0)
	v_mul_f32_e32 v3, v15, v5
	v_fmac_f32_e32 v3, v14, v4
	v_mul_f32_e32 v4, v15, v4
	v_fma_f32 v4, v14, v5, -v4
	v_mul_f32_e32 v5, v36, v7
	v_fmac_f32_e32 v5, v35, v6
	v_mul_f32_e32 v6, v36, v6
	v_fma_f32 v6, v35, v7, -v6
	v_sub_f32_e32 v7, v0, v3
	v_sub_f32_e32 v12, v1, v4
	;; [unrolled: 1-line block ×4, first 2 shown]
	v_fma_f32 v3, v0, 2.0, -v7
	v_fma_f32 v4, v1, 2.0, -v12
	;; [unrolled: 1-line block ×4, first 2 shown]
	v_sub_f32_e32 v0, v3, v0
	v_sub_f32_e32 v1, v4, v1
	v_fma_f32 v2, v3, 2.0, -v0
	v_fma_f32 v3, v4, 2.0, -v1
	v_add_f32_e32 v4, v7, v6
	v_sub_f32_e32 v5, v12, v5
	v_fma_f32 v6, v7, 2.0, -v4
	v_fma_f32 v7, v12, 2.0, -v5
	ds_write2_b64 v41, v[2:3], v[6:7] offset1:35
	ds_write2_b64 v41, v[0:1], v[4:5] offset0:70 offset1:105
	s_and_saveexec_b64 s[2:3], s[0:1]
	s_cbranch_execz .LBB0_21
; %bb.20:
	v_mul_f32_e32 v0, v11, v16
	v_fma_f32 v0, v10, v17, -v0
	v_sub_f32_e32 v4, v21, v0
	v_mul_f32_e32 v6, v9, v23
	v_mul_f32_e32 v0, v34, v19
	v_fmac_f32_e32 v6, v8, v22
	v_fmac_f32_e32 v0, v33, v18
	v_sub_f32_e32 v12, v6, v0
	v_mul_f32_e32 v0, v11, v17
	v_fmac_f32_e32 v0, v10, v16
	v_sub_f32_e32 v10, v20, v0
	v_mul_f32_e32 v0, v9, v22
	v_fma_f32 v5, v8, v23, -v0
	v_mul_f32_e32 v0, v34, v18
	v_fma_f32 v0, v33, v19, -v0
	v_sub_f32_e32 v1, v4, v12
	v_sub_f32_e32 v7, v5, v0
	v_fma_f32 v3, v4, 2.0, -v1
	v_fma_f32 v4, v21, 2.0, -v4
	;; [unrolled: 1-line block ×3, first 2 shown]
	v_sub_f32_e32 v5, v4, v5
	v_add_f32_e32 v0, v10, v7
	v_fma_f32 v7, v4, 2.0, -v5
	v_fma_f32 v8, v20, 2.0, -v10
	;; [unrolled: 1-line block ×3, first 2 shown]
	v_sub_f32_e32 v4, v8, v4
	v_fma_f32 v2, v10, 2.0, -v0
	v_fma_f32 v6, v8, 2.0, -v4
	ds_write2_b64 v41, v[6:7], v[2:3] offset0:28 offset1:63
	ds_write2_b64 v41, v[4:5], v[0:1] offset0:98 offset1:133
.LBB0_21:
	s_or_b64 exec, exec, s[2:3]
	s_waitcnt lgkmcnt(0)
	; wave barrier
	s_waitcnt lgkmcnt(0)
	s_and_b64 exec, exec, vcc
	s_cbranch_execz .LBB0_23
; %bb.22:
	global_load_dwordx2 v[8:9], v38, s[10:11]
	global_load_dwordx2 v[10:11], v38, s[10:11] offset:160
	global_load_dwordx2 v[12:13], v38, s[10:11] offset:320
	;; [unrolled: 1-line block ×4, first 2 shown]
	ds_read_b64 v[20:21], v41
	ds_read2_b64 v[0:3], v41 offset0:20 offset1:40
	ds_read2_b64 v[4:7], v41 offset0:60 offset1:80
	global_load_dwordx2 v[24:25], v38, s[10:11] offset:800
	global_load_dwordx2 v[26:27], v38, s[10:11] offset:960
	v_mad_u64_u32 v[18:19], s[0:1], s6, v32, 0
	v_mad_u64_u32 v[22:23], s[2:3], s4, v37, 0
	s_mul_i32 s2, s5, 0xa0
	s_mul_hi_u32 s3, s4, 0xa0
	s_add_i32 s6, s3, s2
	s_waitcnt lgkmcnt(2)
	v_mad_u64_u32 v[28:29], s[2:3], s7, v32, v[19:20]
	v_mov_b32_e32 v31, s9
	s_mulk_i32 s4, 0xa0
	v_mov_b32_e32 v19, v28
	v_lshlrev_b64 v[18:19], 3, v[18:19]
	v_mov_b32_e32 v33, s6
	v_add_co_u32_e32 v18, vcc, s8, v18
	v_addc_co_u32_e32 v19, vcc, v31, v19, vcc
	s_mov_b32 s0, 0x1d41d41d
	s_mov_b32 s1, 0x3f7d41d4
	v_mov_b32_e32 v32, s6
	s_waitcnt vmcnt(5) lgkmcnt(1)
	v_mul_f32_e32 v31, v1, v11
	v_mul_f32_e32 v11, v0, v11
	s_waitcnt vmcnt(3) lgkmcnt(0)
	v_mul_f32_e32 v34, v5, v15
	v_mul_f32_e32 v15, v4, v15
	s_waitcnt vmcnt(2)
	v_mul_f32_e32 v35, v7, v17
	v_mul_f32_e32 v17, v6, v17
	s_waitcnt vmcnt(1)
	v_mad_u64_u32 v[29:30], s[2:3], s5, v37, v[23:24]
	v_mov_b32_e32 v30, s6
	v_fmac_f32_e32 v31, v0, v10
	v_mov_b32_e32 v23, v29
	v_lshlrev_b64 v[22:23], 3, v[22:23]
	v_fmac_f32_e32 v34, v4, v14
	v_add_co_u32_e32 v18, vcc, v18, v22
	v_addc_co_u32_e32 v19, vcc, v19, v23, vcc
	v_add_co_u32_e32 v22, vcc, s4, v18
	v_addc_co_u32_e32 v23, vcc, v19, v33, vcc
	;; [unrolled: 2-line block ×3, first 2 shown]
	v_mul_f32_e32 v30, v21, v9
	v_mul_f32_e32 v9, v20, v9
	;; [unrolled: 1-line block ×4, first 2 shown]
	v_fmac_f32_e32 v30, v20, v8
	v_fma_f32 v8, v8, v21, -v9
	v_fma_f32 v9, v10, v1, -v11
	v_fmac_f32_e32 v33, v2, v12
	v_fma_f32 v10, v12, v3, -v13
	v_cvt_f64_f32_e32 v[0:1], v30
	v_cvt_f64_f32_e32 v[2:3], v8
	v_fma_f32 v14, v14, v5, -v15
	v_fmac_f32_e32 v35, v6, v16
	v_fma_f32 v20, v16, v7, -v17
	v_cvt_f64_f32_e32 v[4:5], v31
	v_cvt_f64_f32_e32 v[6:7], v9
	v_cvt_f64_f32_e32 v[8:9], v33
	v_cvt_f64_f32_e32 v[10:11], v10
	v_mul_f64 v[0:1], v[0:1], s[0:1]
	v_mul_f64 v[2:3], v[2:3], s[0:1]
	;; [unrolled: 1-line block ×4, first 2 shown]
	v_cvt_f64_f32_e32 v[12:13], v34
	v_cvt_f64_f32_e32 v[14:15], v14
	v_mul_f64 v[8:9], v[8:9], s[0:1]
	v_mul_f64 v[10:11], v[10:11], s[0:1]
	;; [unrolled: 1-line block ×4, first 2 shown]
	v_cvt_f32_f64_e32 v0, v[0:1]
	v_cvt_f32_f64_e32 v1, v[2:3]
	v_cvt_f64_f32_e32 v[16:17], v35
	v_cvt_f64_f32_e32 v[20:21], v20
	v_cvt_f32_f64_e32 v2, v[4:5]
	v_cvt_f32_f64_e32 v3, v[6:7]
	;; [unrolled: 1-line block ×4, first 2 shown]
	global_store_dwordx2 v[18:19], v[0:1], off
	global_store_dwordx2 v[22:23], v[2:3], off
	;; [unrolled: 1-line block ×3, first 2 shown]
	v_mul_f64 v[4:5], v[16:17], s[0:1]
	v_mul_f64 v[8:9], v[20:21], s[0:1]
	ds_read2_b64 v[0:3], v41 offset0:100 offset1:120
	v_cvt_f32_f64_e32 v6, v[12:13]
	v_cvt_f32_f64_e32 v7, v[14:15]
	v_add_co_u32_e32 v10, vcc, s4, v28
	v_addc_co_u32_e32 v11, vcc, v29, v32, vcc
	global_store_dwordx2 v[10:11], v[6:7], off
	s_waitcnt lgkmcnt(0)
	v_mul_f32_e32 v6, v1, v25
	v_fmac_f32_e32 v6, v0, v24
	v_mul_f32_e32 v0, v0, v25
	v_fma_f32 v0, v24, v1, -v0
	v_cvt_f32_f64_e32 v4, v[4:5]
	v_cvt_f32_f64_e32 v5, v[8:9]
	v_cvt_f64_f32_e32 v[6:7], v6
	v_cvt_f64_f32_e32 v[0:1], v0
	v_mov_b32_e32 v9, s6
	v_add_co_u32_e32 v8, vcc, s4, v10
	v_addc_co_u32_e32 v9, vcc, v11, v9, vcc
	global_store_dwordx2 v[8:9], v[4:5], off
	v_mul_f64 v[4:5], v[6:7], s[0:1]
	v_mul_f64 v[0:1], v[0:1], s[0:1]
	s_waitcnt vmcnt(5)
	v_mul_f32_e32 v6, v3, v27
	v_fmac_f32_e32 v6, v2, v26
	v_mul_f32_e32 v2, v2, v27
	v_fma_f32 v2, v26, v3, -v2
	v_cvt_f64_f32_e32 v[6:7], v6
	v_cvt_f64_f32_e32 v[2:3], v2
	v_cvt_f32_f64_e32 v4, v[4:5]
	v_cvt_f32_f64_e32 v5, v[0:1]
	v_mul_f64 v[0:1], v[6:7], s[0:1]
	v_mul_f64 v[2:3], v[2:3], s[0:1]
	v_mov_b32_e32 v7, s6
	v_add_co_u32_e32 v6, vcc, s4, v8
	v_addc_co_u32_e32 v7, vcc, v9, v7, vcc
	global_store_dwordx2 v[6:7], v[4:5], off
	v_cvt_f32_f64_e32 v0, v[0:1]
	v_cvt_f32_f64_e32 v1, v[2:3]
	v_mov_b32_e32 v3, s6
	v_add_co_u32_e32 v2, vcc, s4, v6
	v_addc_co_u32_e32 v3, vcc, v7, v3, vcc
	global_store_dwordx2 v[2:3], v[0:1], off
.LBB0_23:
	s_endpgm
	.section	.rodata,"a",@progbits
	.p2align	6, 0x0
	.amdhsa_kernel bluestein_single_fwd_len140_dim1_sp_op_CI_CI
		.amdhsa_group_segment_fixed_size 2240
		.amdhsa_private_segment_fixed_size 0
		.amdhsa_kernarg_size 104
		.amdhsa_user_sgpr_count 6
		.amdhsa_user_sgpr_private_segment_buffer 1
		.amdhsa_user_sgpr_dispatch_ptr 0
		.amdhsa_user_sgpr_queue_ptr 0
		.amdhsa_user_sgpr_kernarg_segment_ptr 1
		.amdhsa_user_sgpr_dispatch_id 0
		.amdhsa_user_sgpr_flat_scratch_init 0
		.amdhsa_user_sgpr_private_segment_size 0
		.amdhsa_uses_dynamic_stack 0
		.amdhsa_system_sgpr_private_segment_wavefront_offset 0
		.amdhsa_system_sgpr_workgroup_id_x 1
		.amdhsa_system_sgpr_workgroup_id_y 0
		.amdhsa_system_sgpr_workgroup_id_z 0
		.amdhsa_system_sgpr_workgroup_info 0
		.amdhsa_system_vgpr_workitem_id 0
		.amdhsa_next_free_vgpr 56
		.amdhsa_next_free_sgpr 16
		.amdhsa_reserve_vcc 1
		.amdhsa_reserve_flat_scratch 0
		.amdhsa_float_round_mode_32 0
		.amdhsa_float_round_mode_16_64 0
		.amdhsa_float_denorm_mode_32 3
		.amdhsa_float_denorm_mode_16_64 3
		.amdhsa_dx10_clamp 1
		.amdhsa_ieee_mode 1
		.amdhsa_fp16_overflow 0
		.amdhsa_exception_fp_ieee_invalid_op 0
		.amdhsa_exception_fp_denorm_src 0
		.amdhsa_exception_fp_ieee_div_zero 0
		.amdhsa_exception_fp_ieee_overflow 0
		.amdhsa_exception_fp_ieee_underflow 0
		.amdhsa_exception_fp_ieee_inexact 0
		.amdhsa_exception_int_div_zero 0
	.end_amdhsa_kernel
	.text
.Lfunc_end0:
	.size	bluestein_single_fwd_len140_dim1_sp_op_CI_CI, .Lfunc_end0-bluestein_single_fwd_len140_dim1_sp_op_CI_CI
                                        ; -- End function
	.section	.AMDGPU.csdata,"",@progbits
; Kernel info:
; codeLenInByte = 5072
; NumSgprs: 20
; NumVgprs: 56
; ScratchSize: 0
; MemoryBound: 0
; FloatMode: 240
; IeeeMode: 1
; LDSByteSize: 2240 bytes/workgroup (compile time only)
; SGPRBlocks: 2
; VGPRBlocks: 13
; NumSGPRsForWavesPerEU: 20
; NumVGPRsForWavesPerEU: 56
; Occupancy: 4
; WaveLimiterHint : 1
; COMPUTE_PGM_RSRC2:SCRATCH_EN: 0
; COMPUTE_PGM_RSRC2:USER_SGPR: 6
; COMPUTE_PGM_RSRC2:TRAP_HANDLER: 0
; COMPUTE_PGM_RSRC2:TGID_X_EN: 1
; COMPUTE_PGM_RSRC2:TGID_Y_EN: 0
; COMPUTE_PGM_RSRC2:TGID_Z_EN: 0
; COMPUTE_PGM_RSRC2:TIDIG_COMP_CNT: 0
	.type	__hip_cuid_5b8bb00eb9885504,@object ; @__hip_cuid_5b8bb00eb9885504
	.section	.bss,"aw",@nobits
	.globl	__hip_cuid_5b8bb00eb9885504
__hip_cuid_5b8bb00eb9885504:
	.byte	0                               ; 0x0
	.size	__hip_cuid_5b8bb00eb9885504, 1

	.ident	"AMD clang version 19.0.0git (https://github.com/RadeonOpenCompute/llvm-project roc-6.4.0 25133 c7fe45cf4b819c5991fe208aaa96edf142730f1d)"
	.section	".note.GNU-stack","",@progbits
	.addrsig
	.addrsig_sym __hip_cuid_5b8bb00eb9885504
	.amdgpu_metadata
---
amdhsa.kernels:
  - .args:
      - .actual_access:  read_only
        .address_space:  global
        .offset:         0
        .size:           8
        .value_kind:     global_buffer
      - .actual_access:  read_only
        .address_space:  global
        .offset:         8
        .size:           8
        .value_kind:     global_buffer
      - .actual_access:  read_only
        .address_space:  global
        .offset:         16
        .size:           8
        .value_kind:     global_buffer
      - .actual_access:  read_only
        .address_space:  global
        .offset:         24
        .size:           8
        .value_kind:     global_buffer
      - .actual_access:  read_only
        .address_space:  global
        .offset:         32
        .size:           8
        .value_kind:     global_buffer
      - .offset:         40
        .size:           8
        .value_kind:     by_value
      - .address_space:  global
        .offset:         48
        .size:           8
        .value_kind:     global_buffer
      - .address_space:  global
        .offset:         56
        .size:           8
        .value_kind:     global_buffer
      - .address_space:  global
        .offset:         64
        .size:           8
        .value_kind:     global_buffer
      - .address_space:  global
        .offset:         72
        .size:           8
        .value_kind:     global_buffer
      - .offset:         80
        .size:           4
        .value_kind:     by_value
      - .address_space:  global
        .offset:         88
        .size:           8
        .value_kind:     global_buffer
      - .address_space:  global
        .offset:         96
        .size:           8
        .value_kind:     global_buffer
    .group_segment_fixed_size: 2240
    .kernarg_segment_align: 8
    .kernarg_segment_size: 104
    .language:       OpenCL C
    .language_version:
      - 2
      - 0
    .max_flat_workgroup_size: 56
    .name:           bluestein_single_fwd_len140_dim1_sp_op_CI_CI
    .private_segment_fixed_size: 0
    .sgpr_count:     20
    .sgpr_spill_count: 0
    .symbol:         bluestein_single_fwd_len140_dim1_sp_op_CI_CI.kd
    .uniform_work_group_size: 1
    .uses_dynamic_stack: false
    .vgpr_count:     56
    .vgpr_spill_count: 0
    .wavefront_size: 64
amdhsa.target:   amdgcn-amd-amdhsa--gfx906
amdhsa.version:
  - 1
  - 2
...

	.end_amdgpu_metadata
